;; amdgpu-corpus repo=ROCm/rocFFT kind=compiled arch=gfx1100 opt=O3
	.text
	.amdgcn_target "amdgcn-amd-amdhsa--gfx1100"
	.amdhsa_code_object_version 6
	.protected	fft_rtc_back_len22_factors_11_2_wgs_64_tpt_2_halfLds_sp_op_CI_CI_sbrr_dirReg ; -- Begin function fft_rtc_back_len22_factors_11_2_wgs_64_tpt_2_halfLds_sp_op_CI_CI_sbrr_dirReg
	.globl	fft_rtc_back_len22_factors_11_2_wgs_64_tpt_2_halfLds_sp_op_CI_CI_sbrr_dirReg
	.p2align	8
	.type	fft_rtc_back_len22_factors_11_2_wgs_64_tpt_2_halfLds_sp_op_CI_CI_sbrr_dirReg,@function
fft_rtc_back_len22_factors_11_2_wgs_64_tpt_2_halfLds_sp_op_CI_CI_sbrr_dirReg: ; @fft_rtc_back_len22_factors_11_2_wgs_64_tpt_2_halfLds_sp_op_CI_CI_sbrr_dirReg
; %bb.0:
	s_clause 0x2
	s_load_b128 s[16:19], s[0:1], 0x18
	s_load_b128 s[4:7], s[0:1], 0x0
	;; [unrolled: 1-line block ×3, first 2 shown]
	v_lshrrev_b32_e32 v11, 1, v0
	v_mov_b32_e32 v3, 0
	v_mov_b32_e32 v13, 0
	;; [unrolled: 1-line block ×3, first 2 shown]
	s_waitcnt lgkmcnt(0)
	s_load_b64 s[20:21], s[16:17], 0x0
	s_load_b64 s[12:13], s[18:19], 0x0
	v_cmp_lt_u64_e64 s2, s[6:7], 2
	v_lshl_or_b32 v7, s15, 5, v11
	v_mov_b32_e32 v8, v3
	s_delay_alu instid0(VALU_DEP_3)
	s_and_b32 vcc_lo, exec_lo, s2
	s_cbranch_vccnz .LBB0_8
; %bb.1:
	s_load_b64 s[2:3], s[0:1], 0x10
	v_mov_b32_e32 v13, 0
	v_mov_b32_e32 v14, 0
	s_add_u32 s14, s18, 8
	s_addc_u32 s15, s19, 0
	s_add_u32 s22, s16, 8
	s_delay_alu instid0(VALU_DEP_1)
	v_dual_mov_b32 v1, v13 :: v_dual_mov_b32 v2, v14
	s_addc_u32 s23, s17, 0
	s_mov_b64 s[26:27], 1
	s_waitcnt lgkmcnt(0)
	s_add_u32 s24, s2, 8
	s_addc_u32 s25, s3, 0
.LBB0_2:                                ; =>This Inner Loop Header: Depth=1
	s_load_b64 s[28:29], s[24:25], 0x0
                                        ; implicit-def: $vgpr5_vgpr6
	s_mov_b32 s2, exec_lo
	s_waitcnt lgkmcnt(0)
	v_or_b32_e32 v4, s29, v8
	s_delay_alu instid0(VALU_DEP_1)
	v_cmpx_ne_u64_e32 0, v[3:4]
	s_xor_b32 s3, exec_lo, s2
	s_cbranch_execz .LBB0_4
; %bb.3:                                ;   in Loop: Header=BB0_2 Depth=1
	v_cvt_f32_u32_e32 v4, s28
	v_cvt_f32_u32_e32 v5, s29
	s_sub_u32 s2, 0, s28
	s_subb_u32 s30, 0, s29
	s_delay_alu instid0(VALU_DEP_1) | instskip(NEXT) | instid1(VALU_DEP_1)
	v_fmac_f32_e32 v4, 0x4f800000, v5
	v_rcp_f32_e32 v4, v4
	s_waitcnt_depctr 0xfff
	v_mul_f32_e32 v4, 0x5f7ffffc, v4
	s_delay_alu instid0(VALU_DEP_1) | instskip(NEXT) | instid1(VALU_DEP_1)
	v_mul_f32_e32 v5, 0x2f800000, v4
	v_trunc_f32_e32 v5, v5
	s_delay_alu instid0(VALU_DEP_1) | instskip(SKIP_1) | instid1(VALU_DEP_2)
	v_fmac_f32_e32 v4, 0xcf800000, v5
	v_cvt_u32_f32_e32 v5, v5
	v_cvt_u32_f32_e32 v4, v4
	s_delay_alu instid0(VALU_DEP_2) | instskip(NEXT) | instid1(VALU_DEP_2)
	v_mul_lo_u32 v6, s2, v5
	v_mul_hi_u32 v9, s2, v4
	v_mul_lo_u32 v10, s30, v4
	s_delay_alu instid0(VALU_DEP_2) | instskip(SKIP_1) | instid1(VALU_DEP_2)
	v_add_nc_u32_e32 v6, v9, v6
	v_mul_lo_u32 v9, s2, v4
	v_add_nc_u32_e32 v6, v6, v10
	s_delay_alu instid0(VALU_DEP_2) | instskip(NEXT) | instid1(VALU_DEP_2)
	v_mul_hi_u32 v10, v4, v9
	v_mul_lo_u32 v12, v4, v6
	v_mul_hi_u32 v15, v4, v6
	v_mul_hi_u32 v16, v5, v9
	v_mul_lo_u32 v9, v5, v9
	v_mul_hi_u32 v17, v5, v6
	v_mul_lo_u32 v6, v5, v6
	v_add_co_u32 v10, vcc_lo, v10, v12
	v_add_co_ci_u32_e32 v12, vcc_lo, 0, v15, vcc_lo
	s_delay_alu instid0(VALU_DEP_2) | instskip(NEXT) | instid1(VALU_DEP_2)
	v_add_co_u32 v9, vcc_lo, v10, v9
	v_add_co_ci_u32_e32 v9, vcc_lo, v12, v16, vcc_lo
	v_add_co_ci_u32_e32 v10, vcc_lo, 0, v17, vcc_lo
	s_delay_alu instid0(VALU_DEP_2) | instskip(NEXT) | instid1(VALU_DEP_2)
	v_add_co_u32 v6, vcc_lo, v9, v6
	v_add_co_ci_u32_e32 v9, vcc_lo, 0, v10, vcc_lo
	s_delay_alu instid0(VALU_DEP_2) | instskip(NEXT) | instid1(VALU_DEP_2)
	v_add_co_u32 v4, vcc_lo, v4, v6
	v_add_co_ci_u32_e32 v5, vcc_lo, v5, v9, vcc_lo
	s_delay_alu instid0(VALU_DEP_2) | instskip(SKIP_1) | instid1(VALU_DEP_3)
	v_mul_hi_u32 v6, s2, v4
	v_mul_lo_u32 v10, s30, v4
	v_mul_lo_u32 v9, s2, v5
	s_delay_alu instid0(VALU_DEP_1) | instskip(SKIP_1) | instid1(VALU_DEP_2)
	v_add_nc_u32_e32 v6, v6, v9
	v_mul_lo_u32 v9, s2, v4
	v_add_nc_u32_e32 v6, v6, v10
	s_delay_alu instid0(VALU_DEP_2) | instskip(NEXT) | instid1(VALU_DEP_2)
	v_mul_hi_u32 v10, v4, v9
	v_mul_lo_u32 v12, v4, v6
	v_mul_hi_u32 v15, v4, v6
	v_mul_hi_u32 v16, v5, v9
	v_mul_lo_u32 v9, v5, v9
	v_mul_hi_u32 v17, v5, v6
	v_mul_lo_u32 v6, v5, v6
	v_add_co_u32 v10, vcc_lo, v10, v12
	v_add_co_ci_u32_e32 v12, vcc_lo, 0, v15, vcc_lo
	s_delay_alu instid0(VALU_DEP_2) | instskip(NEXT) | instid1(VALU_DEP_2)
	v_add_co_u32 v9, vcc_lo, v10, v9
	v_add_co_ci_u32_e32 v9, vcc_lo, v12, v16, vcc_lo
	v_add_co_ci_u32_e32 v10, vcc_lo, 0, v17, vcc_lo
	s_delay_alu instid0(VALU_DEP_2) | instskip(NEXT) | instid1(VALU_DEP_2)
	v_add_co_u32 v6, vcc_lo, v9, v6
	v_add_co_ci_u32_e32 v9, vcc_lo, 0, v10, vcc_lo
	s_delay_alu instid0(VALU_DEP_2) | instskip(NEXT) | instid1(VALU_DEP_2)
	v_add_co_u32 v6, vcc_lo, v4, v6
	v_add_co_ci_u32_e32 v12, vcc_lo, v5, v9, vcc_lo
	s_delay_alu instid0(VALU_DEP_2) | instskip(SKIP_1) | instid1(VALU_DEP_3)
	v_mul_hi_u32 v17, v7, v6
	v_mad_u64_u32 v[9:10], null, v8, v6, 0
	v_mad_u64_u32 v[4:5], null, v7, v12, 0
	;; [unrolled: 1-line block ×3, first 2 shown]
	s_delay_alu instid0(VALU_DEP_2) | instskip(NEXT) | instid1(VALU_DEP_3)
	v_add_co_u32 v4, vcc_lo, v17, v4
	v_add_co_ci_u32_e32 v5, vcc_lo, 0, v5, vcc_lo
	s_delay_alu instid0(VALU_DEP_2) | instskip(NEXT) | instid1(VALU_DEP_2)
	v_add_co_u32 v4, vcc_lo, v4, v9
	v_add_co_ci_u32_e32 v4, vcc_lo, v5, v10, vcc_lo
	v_add_co_ci_u32_e32 v5, vcc_lo, 0, v16, vcc_lo
	s_delay_alu instid0(VALU_DEP_2) | instskip(NEXT) | instid1(VALU_DEP_2)
	v_add_co_u32 v9, vcc_lo, v4, v15
	v_add_co_ci_u32_e32 v6, vcc_lo, 0, v5, vcc_lo
	s_delay_alu instid0(VALU_DEP_2) | instskip(SKIP_1) | instid1(VALU_DEP_3)
	v_mul_lo_u32 v10, s29, v9
	v_mad_u64_u32 v[4:5], null, s28, v9, 0
	v_mul_lo_u32 v12, s28, v6
	s_delay_alu instid0(VALU_DEP_2) | instskip(NEXT) | instid1(VALU_DEP_2)
	v_sub_co_u32 v4, vcc_lo, v7, v4
	v_add3_u32 v5, v5, v12, v10
	s_delay_alu instid0(VALU_DEP_1) | instskip(NEXT) | instid1(VALU_DEP_1)
	v_sub_nc_u32_e32 v10, v8, v5
	v_subrev_co_ci_u32_e64 v10, s2, s29, v10, vcc_lo
	v_add_co_u32 v12, s2, v9, 2
	s_delay_alu instid0(VALU_DEP_1) | instskip(SKIP_3) | instid1(VALU_DEP_3)
	v_add_co_ci_u32_e64 v15, s2, 0, v6, s2
	v_sub_co_u32 v16, s2, v4, s28
	v_sub_co_ci_u32_e32 v5, vcc_lo, v8, v5, vcc_lo
	v_subrev_co_ci_u32_e64 v10, s2, 0, v10, s2
	v_cmp_le_u32_e32 vcc_lo, s28, v16
	s_delay_alu instid0(VALU_DEP_3) | instskip(SKIP_1) | instid1(VALU_DEP_4)
	v_cmp_eq_u32_e64 s2, s29, v5
	v_cndmask_b32_e64 v16, 0, -1, vcc_lo
	v_cmp_le_u32_e32 vcc_lo, s29, v10
	v_cndmask_b32_e64 v17, 0, -1, vcc_lo
	v_cmp_le_u32_e32 vcc_lo, s28, v4
	;; [unrolled: 2-line block ×3, first 2 shown]
	v_cndmask_b32_e64 v18, 0, -1, vcc_lo
	v_cmp_eq_u32_e32 vcc_lo, s29, v10
	s_delay_alu instid0(VALU_DEP_2) | instskip(SKIP_3) | instid1(VALU_DEP_3)
	v_cndmask_b32_e64 v4, v18, v4, s2
	v_cndmask_b32_e32 v10, v17, v16, vcc_lo
	v_add_co_u32 v16, vcc_lo, v9, 1
	v_add_co_ci_u32_e32 v17, vcc_lo, 0, v6, vcc_lo
	v_cmp_ne_u32_e32 vcc_lo, 0, v10
	s_delay_alu instid0(VALU_DEP_2) | instskip(SKIP_1) | instid1(VALU_DEP_2)
	v_dual_cndmask_b32 v5, v17, v15 :: v_dual_cndmask_b32 v10, v16, v12
	v_cmp_ne_u32_e32 vcc_lo, 0, v4
	v_dual_cndmask_b32 v6, v6, v5 :: v_dual_cndmask_b32 v5, v9, v10
.LBB0_4:                                ;   in Loop: Header=BB0_2 Depth=1
	s_and_not1_saveexec_b32 s2, s3
	s_cbranch_execz .LBB0_6
; %bb.5:                                ;   in Loop: Header=BB0_2 Depth=1
	v_cvt_f32_u32_e32 v4, s28
	s_sub_i32 s3, 0, s28
	s_delay_alu instid0(VALU_DEP_1) | instskip(SKIP_2) | instid1(VALU_DEP_1)
	v_rcp_iflag_f32_e32 v4, v4
	s_waitcnt_depctr 0xfff
	v_mul_f32_e32 v4, 0x4f7ffffe, v4
	v_cvt_u32_f32_e32 v4, v4
	s_delay_alu instid0(VALU_DEP_1) | instskip(NEXT) | instid1(VALU_DEP_1)
	v_mul_lo_u32 v5, s3, v4
	v_mul_hi_u32 v5, v4, v5
	s_delay_alu instid0(VALU_DEP_1) | instskip(NEXT) | instid1(VALU_DEP_1)
	v_add_nc_u32_e32 v4, v4, v5
	v_mul_hi_u32 v4, v7, v4
	s_delay_alu instid0(VALU_DEP_1) | instskip(SKIP_1) | instid1(VALU_DEP_2)
	v_mul_lo_u32 v5, v4, s28
	v_add_nc_u32_e32 v6, 1, v4
	v_sub_nc_u32_e32 v5, v7, v5
	s_delay_alu instid0(VALU_DEP_1) | instskip(SKIP_1) | instid1(VALU_DEP_2)
	v_subrev_nc_u32_e32 v9, s28, v5
	v_cmp_le_u32_e32 vcc_lo, s28, v5
	v_dual_cndmask_b32 v5, v5, v9 :: v_dual_cndmask_b32 v4, v4, v6
	s_delay_alu instid0(VALU_DEP_1) | instskip(NEXT) | instid1(VALU_DEP_2)
	v_cmp_le_u32_e32 vcc_lo, s28, v5
	v_add_nc_u32_e32 v6, 1, v4
	s_delay_alu instid0(VALU_DEP_1)
	v_dual_cndmask_b32 v5, v4, v6 :: v_dual_mov_b32 v6, v3
.LBB0_6:                                ;   in Loop: Header=BB0_2 Depth=1
	s_or_b32 exec_lo, exec_lo, s2
	s_delay_alu instid0(VALU_DEP_1) | instskip(NEXT) | instid1(VALU_DEP_2)
	v_mul_lo_u32 v4, v6, s28
	v_mul_lo_u32 v12, v5, s29
	s_load_b64 s[2:3], s[22:23], 0x0
	v_mad_u64_u32 v[9:10], null, v5, s28, 0
	s_load_b64 s[28:29], s[14:15], 0x0
	s_add_u32 s26, s26, 1
	s_addc_u32 s27, s27, 0
	s_add_u32 s14, s14, 8
	s_addc_u32 s15, s15, 0
	s_add_u32 s22, s22, 8
	s_delay_alu instid0(VALU_DEP_1) | instskip(SKIP_3) | instid1(VALU_DEP_2)
	v_add3_u32 v4, v10, v12, v4
	v_sub_co_u32 v12, vcc_lo, v7, v9
	s_addc_u32 s23, s23, 0
	s_add_u32 s24, s24, 8
	v_sub_co_ci_u32_e32 v4, vcc_lo, v8, v4, vcc_lo
	s_addc_u32 s25, s25, 0
	s_waitcnt lgkmcnt(0)
	s_delay_alu instid0(VALU_DEP_1)
	v_mul_lo_u32 v15, s2, v4
	v_mul_lo_u32 v16, s3, v12
	v_mad_u64_u32 v[7:8], null, s2, v12, v[13:14]
	v_mul_lo_u32 v4, s28, v4
	v_mul_lo_u32 v17, s29, v12
	v_mad_u64_u32 v[9:10], null, s28, v12, v[1:2]
	v_cmp_ge_u64_e64 s2, s[26:27], s[6:7]
	v_add3_u32 v14, v16, v8, v15
	v_mov_b32_e32 v13, v7
	s_delay_alu instid0(VALU_DEP_4)
	v_add3_u32 v2, v17, v10, v4
	v_mov_b32_e32 v1, v9
	s_and_b32 vcc_lo, exec_lo, s2
	s_cbranch_vccnz .LBB0_9
; %bb.7:                                ;   in Loop: Header=BB0_2 Depth=1
	v_dual_mov_b32 v8, v6 :: v_dual_mov_b32 v7, v5
	s_branch .LBB0_2
.LBB0_8:
	v_dual_mov_b32 v1, v13 :: v_dual_mov_b32 v2, v14
	s_delay_alu instid0(VALU_DEP_2)
	v_dual_mov_b32 v5, v7 :: v_dual_mov_b32 v6, v8
.LBB0_9:
	s_load_b64 s[0:1], s[0:1], 0x28
	s_lshl_b64 s[6:7], s[6:7], 3
	v_and_b32_e32 v3, 1, v0
	s_add_u32 s2, s18, s6
	s_addc_u32 s3, s19, s7
                                        ; implicit-def: $sgpr14_sgpr15
                                        ; implicit-def: $vgpr7
                                        ; implicit-def: $vgpr9
                                        ; implicit-def: $vgpr12
                                        ; implicit-def: $vgpr10
	s_waitcnt lgkmcnt(0)
	v_cmp_gt_u64_e32 vcc_lo, s[0:1], v[5:6]
	v_cmp_le_u64_e64 s0, s[0:1], v[5:6]
	s_delay_alu instid0(VALU_DEP_1) | instskip(NEXT) | instid1(SALU_CYCLE_1)
	s_and_saveexec_b32 s1, s0
	s_xor_b32 s0, exec_lo, s1
; %bb.10:
	v_and_b32_e32 v3, 1, v0
	s_mov_b64 s[14:15], 0
                                        ; implicit-def: $vgpr13_vgpr14
	s_delay_alu instid0(VALU_DEP_1)
	v_or_b32_e32 v7, 2, v3
	v_or_b32_e32 v9, 4, v3
	;; [unrolled: 1-line block ×4, first 2 shown]
; %bb.11:
	s_or_saveexec_b32 s1, s0
	v_dual_mov_b32 v23, s15 :: v_dual_mov_b32 v22, s14
                                        ; implicit-def: $vgpr37
                                        ; implicit-def: $vgpr33
                                        ; implicit-def: $vgpr27
                                        ; implicit-def: $vgpr29
                                        ; implicit-def: $vgpr21
                                        ; implicit-def: $vgpr25
                                        ; implicit-def: $vgpr35
                                        ; implicit-def: $vgpr39
                                        ; implicit-def: $vgpr41
                                        ; implicit-def: $vgpr31
	s_xor_b32 exec_lo, exec_lo, s1
	s_cbranch_execz .LBB0_13
; %bb.12:
	s_add_u32 s6, s16, s6
	s_addc_u32 s7, s17, s7
	v_or_b32_e32 v7, 2, v3
	s_load_b64 s[6:7], s[6:7], 0x0
	v_or_b32_e32 v9, 4, v3
	v_or_b32_e32 v12, 6, v3
	v_mul_lo_u32 v16, s21, v3
	v_mad_u64_u32 v[17:18], null, s20, v7, 0
	s_delay_alu instid0(VALU_DEP_4) | instskip(NEXT) | instid1(VALU_DEP_4)
	v_mad_u64_u32 v[19:20], null, s20, v9, 0
	v_mad_u64_u32 v[23:24], null, s20, v12, 0
	v_mul_lo_u32 v15, s20, v3
	v_or_b32_e32 v10, 8, v3
	v_mov_b32_e32 v0, v18
	v_lshlrev_b64 v[13:14], 3, v[13:14]
	v_mov_b32_e32 v4, v20
	v_or_b32_e32 v34, 12, v3
	v_mad_u64_u32 v[28:29], null, s20, v10, 0
	v_lshlrev_b64 v[15:16], 3, v[15:16]
	v_or_b32_e32 v35, 16, v3
	s_waitcnt lgkmcnt(0)
	v_mul_lo_u32 v8, s7, v5
	v_mul_lo_u32 v25, s6, v6
	v_mad_u64_u32 v[21:22], null, s6, v5, 0
	v_or_b32_e32 v40, 18, v3
	v_or_b32_e32 v41, 20, v3
	s_delay_alu instid0(VALU_DEP_3) | instskip(SKIP_3) | instid1(VALU_DEP_4)
	v_add3_u32 v22, v22, v25, v8
	v_mad_u64_u32 v[25:26], null, s21, v7, v[0:1]
	v_mov_b32_e32 v0, v24
	v_mad_u64_u32 v[26:27], null, s21, v9, v[4:5]
	v_lshlrev_b64 v[20:21], 3, v[21:22]
	s_delay_alu instid0(VALU_DEP_3) | instskip(SKIP_1) | instid1(VALU_DEP_3)
	v_mad_u64_u32 v[30:31], null, s21, v12, v[0:1]
	v_mov_b32_e32 v18, v25
	v_add_co_u32 v0, s0, s8, v20
	s_delay_alu instid0(VALU_DEP_1) | instskip(SKIP_1) | instid1(VALU_DEP_3)
	v_add_co_ci_u32_e64 v4, s0, s9, v21, s0
	v_mov_b32_e32 v20, v26
	v_add_co_u32 v8, s0, v0, v13
	v_or_b32_e32 v26, 10, v3
	s_delay_alu instid0(VALU_DEP_4)
	v_add_co_ci_u32_e64 v4, s0, v4, v14, s0
	v_lshlrev_b64 v[13:14], 3, v[17:18]
	v_mov_b32_e32 v24, v30
	v_add_co_u32 v15, s0, v8, v15
	v_lshlrev_b64 v[17:18], 3, v[19:20]
	v_mov_b32_e32 v0, v29
	v_mad_u64_u32 v[19:20], null, s20, v26, 0
	v_add_co_ci_u32_e64 v16, s0, v4, v16, s0
	v_add_co_u32 v13, s0, v8, v13
	v_lshlrev_b64 v[21:22], 3, v[23:24]
	v_add_co_ci_u32_e64 v14, s0, v4, v14, s0
	v_mad_u64_u32 v[23:24], null, s21, v10, v[0:1]
	v_add_co_u32 v17, s0, v8, v17
	s_delay_alu instid0(VALU_DEP_1)
	v_add_co_ci_u32_e64 v18, s0, v4, v18, s0
	v_mov_b32_e32 v0, v20
	v_add_co_u32 v20, s0, v8, v21
	v_mad_u64_u32 v[30:31], null, s20, v34, 0
	v_add_co_ci_u32_e64 v21, s0, v4, v22, s0
	v_mov_b32_e32 v29, v23
	v_mad_u64_u32 v[24:25], null, s21, v26, v[0:1]
	s_clause 0x3
	global_load_b64 v[22:23], v[15:16], off
	global_load_b64 v[36:37], v[13:14], off
	;; [unrolled: 1-line block ×4, first 2 shown]
	v_or_b32_e32 v21, 14, v3
	v_mov_b32_e32 v0, v31
	v_lshlrev_b64 v[13:14], 3, v[28:29]
	s_delay_alu instid0(VALU_DEP_3) | instskip(SKIP_1) | instid1(VALU_DEP_4)
	v_mad_u64_u32 v[15:16], null, s20, v21, 0
	v_mov_b32_e32 v20, v24
	v_mad_u64_u32 v[17:18], null, s21, v34, v[0:1]
	v_mad_u64_u32 v[24:25], null, s20, v35, 0
	s_delay_alu instid0(VALU_DEP_3) | instskip(SKIP_4) | instid1(VALU_DEP_4)
	v_lshlrev_b64 v[18:19], 3, v[19:20]
	v_mov_b32_e32 v0, v16
	v_add_co_u32 v13, s0, v8, v13
	v_mov_b32_e32 v31, v17
	v_add_co_ci_u32_e64 v14, s0, v4, v14, s0
	v_mad_u64_u32 v[16:17], null, s21, v21, v[0:1]
	v_mov_b32_e32 v0, v25
	v_mad_u64_u32 v[20:21], null, s20, v40, 0
	v_add_co_u32 v17, s0, v8, v18
	s_delay_alu instid0(VALU_DEP_3) | instskip(SKIP_1) | instid1(VALU_DEP_4)
	v_mad_u64_u32 v[28:29], null, s21, v35, v[0:1]
	v_mad_u64_u32 v[34:35], null, s20, v41, 0
	v_mov_b32_e32 v0, v21
	v_lshlrev_b64 v[29:30], 3, v[30:31]
	v_add_co_ci_u32_e64 v18, s0, v4, v19, s0
	v_mov_b32_e32 v25, v28
	s_delay_alu instid0(VALU_DEP_4) | instskip(SKIP_4) | instid1(VALU_DEP_4)
	v_mad_u64_u32 v[38:39], null, s21, v40, v[0:1]
	v_mov_b32_e32 v0, v35
	v_add_co_u32 v39, s0, v8, v29
	v_lshlrev_b64 v[15:16], 3, v[15:16]
	v_lshlrev_b64 v[24:25], 3, v[24:25]
	v_mad_u64_u32 v[28:29], null, s21, v41, v[0:1]
	v_mov_b32_e32 v21, v38
	v_add_co_ci_u32_e64 v40, s0, v4, v30, s0
	v_add_co_u32 v15, s0, v8, v15
	s_delay_alu instid0(VALU_DEP_1) | instskip(SKIP_3) | instid1(VALU_DEP_1)
	v_add_co_ci_u32_e64 v16, s0, v4, v16, s0
	v_mov_b32_e32 v35, v28
	v_lshlrev_b64 v[19:20], 3, v[20:21]
	v_add_co_u32 v41, s0, v8, v24
	v_add_co_ci_u32_e64 v42, s0, v4, v25, s0
	s_delay_alu instid0(VALU_DEP_4) | instskip(NEXT) | instid1(VALU_DEP_4)
	v_lshlrev_b64 v[24:25], 3, v[34:35]
	v_add_co_u32 v43, s0, v8, v19
	s_delay_alu instid0(VALU_DEP_1) | instskip(NEXT) | instid1(VALU_DEP_3)
	v_add_co_ci_u32_e64 v44, s0, v4, v20, s0
	v_add_co_u32 v45, s0, v8, v24
	s_delay_alu instid0(VALU_DEP_1)
	v_add_co_ci_u32_e64 v46, s0, v4, v25, s0
	s_clause 0x6
	global_load_b64 v[28:29], v[13:14], off
	global_load_b64 v[20:21], v[17:18], off
	;; [unrolled: 1-line block ×7, first 2 shown]
.LBB0_13:
	s_or_b32 exec_lo, exec_lo, s1
	v_mul_u32_u24_e32 v4, 22, v11
	s_waitcnt vmcnt(0)
	v_dual_sub_f32 v8, v37, v39 :: v_dual_add_f32 v11, v36, v38
	v_add_f32_e32 v0, v36, v22
	v_dual_add_f32 v13, v32, v40 :: v_dual_sub_f32 v14, v33, v41
	s_delay_alu instid0(VALU_DEP_3) | instskip(SKIP_1) | instid1(VALU_DEP_4)
	v_mul_f32_e32 v15, 0xbf0a6770, v8
	v_lshl_add_u32 v4, v4, 2, 0
	v_add_f32_e32 v0, v32, v0
	s_load_b64 s[2:3], s[2:3], 0x0
	v_mul_f32_e32 v19, 0xbf68dda4, v14
	v_fmamk_f32 v44, v11, 0x3f575c64, v15
	v_fma_f32 v15, 0x3f575c64, v11, -v15
	v_mul_f32_e32 v16, 0xbf68dda4, v8
	v_dual_add_f32 v0, v26, v0 :: v_dual_mul_f32 v43, 0x3e903f40, v14
	s_delay_alu instid0(VALU_DEP_4) | instskip(NEXT) | instid1(VALU_DEP_2)
	v_dual_mul_f32 v17, 0xbf7d64f0, v8 :: v_dual_add_f32 v44, v44, v22
	v_dual_add_f32 v15, v15, v22 :: v_dual_add_f32 v0, v28, v0
	s_delay_alu instid0(VALU_DEP_4) | instskip(SKIP_1) | instid1(VALU_DEP_4)
	v_fmamk_f32 v45, v11, 0x3ed4b147, v16
	v_mul_f32_e32 v18, 0xbf4178ce, v8
	v_fmamk_f32 v46, v11, 0xbe11bafb, v17
	v_fma_f32 v17, 0xbe11bafb, v11, -v17
	s_delay_alu instid0(VALU_DEP_4) | instskip(NEXT) | instid1(VALU_DEP_4)
	v_dual_mul_f32 v8, 0xbe903f40, v8 :: v_dual_add_f32 v45, v45, v22
	v_dual_add_f32 v0, v20, v0 :: v_dual_fmamk_f32 v47, v11, 0xbf27a4f4, v18
	v_fma_f32 v16, 0x3ed4b147, v11, -v16
	v_fma_f32 v18, 0xbf27a4f4, v11, -v18
	s_delay_alu instid0(VALU_DEP_3)
	v_dual_add_f32 v17, v17, v22 :: v_dual_add_f32 v0, v24, v0
	v_fmamk_f32 v48, v11, 0xbf75a155, v8
	v_fma_f32 v8, 0xbf75a155, v11, -v8
	v_fmamk_f32 v11, v13, 0x3ed4b147, v19
	v_fma_f32 v19, 0x3ed4b147, v13, -v19
	v_dual_add_f32 v0, v30, v0 :: v_dual_add_f32 v47, v47, v22
	s_delay_alu instid0(VALU_DEP_3) | instskip(SKIP_1) | instid1(VALU_DEP_3)
	v_dual_mul_f32 v42, 0xbf4178ce, v14 :: v_dual_add_f32 v11, v11, v44
	v_add_f32_e32 v46, v46, v22
	v_dual_add_f32 v0, v34, v0 :: v_dual_add_f32 v15, v19, v15
	v_fmamk_f32 v19, v13, 0xbf75a155, v43
	v_fma_f32 v43, 0xbf75a155, v13, -v43
	v_add_f32_e32 v16, v16, v22
	v_cmp_eq_u32_e64 s0, 0, v3
	s_delay_alu instid0(VALU_DEP_3)
	v_add_f32_e32 v17, v43, v17
	v_dual_sub_f32 v43, v27, v35 :: v_dual_add_f32 v0, v40, v0
	v_add_f32_e32 v19, v19, v46
	v_add_f32_e32 v18, v18, v22
	;; [unrolled: 1-line block ×4, first 2 shown]
	v_fmamk_f32 v22, v13, 0xbf27a4f4, v42
	v_fma_f32 v42, 0xbf27a4f4, v13, -v42
	v_dual_add_f32 v46, v26, v34 :: v_dual_mul_f32 v49, 0xbf7d64f0, v43
	s_delay_alu instid0(VALU_DEP_3) | instskip(NEXT) | instid1(VALU_DEP_3)
	v_add_f32_e32 v22, v22, v45
	v_add_f32_e32 v16, v42, v16
	v_mul_f32_e32 v42, 0x3f7d64f0, v14
	v_mul_f32_e32 v14, 0x3f0a6770, v14
	s_delay_alu instid0(VALU_DEP_2) | instskip(SKIP_1) | instid1(VALU_DEP_3)
	v_fmamk_f32 v44, v13, 0xbe11bafb, v42
	v_fma_f32 v42, 0xbe11bafb, v13, -v42
	v_fmamk_f32 v45, v13, 0x3f575c64, v14
	v_fma_f32 v13, 0x3f575c64, v13, -v14
	s_delay_alu instid0(VALU_DEP_4) | instskip(NEXT) | instid1(VALU_DEP_4)
	v_add_f32_e32 v44, v44, v47
	v_dual_mul_f32 v47, 0x3f68dda4, v43 :: v_dual_add_f32 v14, v42, v18
	s_delay_alu instid0(VALU_DEP_3) | instskip(SKIP_3) | instid1(VALU_DEP_3)
	v_add_f32_e32 v8, v13, v8
	v_fma_f32 v13, 0xbe11bafb, v46, -v49
	v_add_f32_e32 v0, v38, v0
	v_dual_add_f32 v18, v45, v48 :: v_dual_mul_f32 v45, 0x3e903f40, v43
	v_add_f32_e32 v13, v13, v15
	v_fmamk_f32 v15, v46, 0x3ed4b147, v47
	s_delay_alu instid0(VALU_DEP_1) | instskip(SKIP_1) | instid1(VALU_DEP_2)
	v_dual_add_f32 v15, v15, v19 :: v_dual_fmamk_f32 v42, v46, 0xbe11bafb, v49
	v_sub_f32_e32 v19, v29, v31
	v_add_f32_e32 v11, v42, v11
	v_fmamk_f32 v42, v46, 0xbf75a155, v45
	s_delay_alu instid0(VALU_DEP_1) | instskip(SKIP_4) | instid1(VALU_DEP_3)
	v_add_f32_e32 v22, v42, v22
	v_mul_f32_e32 v42, 0xbf0a6770, v43
	v_mul_f32_e32 v43, 0xbf4178ce, v43
	v_fma_f32 v45, 0xbf75a155, v46, -v45
	v_fma_f32 v47, 0x3ed4b147, v46, -v47
	v_fmamk_f32 v49, v46, 0xbf27a4f4, v43
	s_delay_alu instid0(VALU_DEP_2) | instskip(SKIP_3) | instid1(VALU_DEP_3)
	v_dual_add_f32 v17, v47, v17 :: v_dual_add_f32 v16, v45, v16
	v_fmamk_f32 v45, v46, 0x3f575c64, v42
	v_fma_f32 v42, 0x3f575c64, v46, -v42
	v_dual_add_f32 v47, v28, v30 :: v_dual_mul_f32 v48, 0xbf4178ce, v19
	v_add_f32_e32 v44, v45, v44
	s_delay_alu instid0(VALU_DEP_3) | instskip(SKIP_1) | instid1(VALU_DEP_4)
	v_add_f32_e32 v14, v42, v14
	v_fma_f32 v42, 0xbf27a4f4, v46, -v43
	v_fmamk_f32 v43, v47, 0xbf27a4f4, v48
	v_mul_f32_e32 v45, 0x3f7d64f0, v19
	v_fma_f32 v46, 0xbf27a4f4, v47, -v48
	s_delay_alu instid0(VALU_DEP_3) | instskip(NEXT) | instid1(VALU_DEP_3)
	v_add_f32_e32 v11, v43, v11
	v_dual_fmamk_f32 v43, v47, 0xbe11bafb, v45 :: v_dual_add_f32 v8, v42, v8
	s_delay_alu instid0(VALU_DEP_3) | instskip(SKIP_1) | instid1(VALU_DEP_3)
	v_dual_mul_f32 v42, 0xbf0a6770, v19 :: v_dual_add_f32 v13, v46, v13
	v_fma_f32 v45, 0xbe11bafb, v47, -v45
	v_add_f32_e32 v22, v43, v22
	v_mul_f32_e32 v46, 0xbe903f40, v19
	s_delay_alu instid0(VALU_DEP_4) | instskip(SKIP_2) | instid1(VALU_DEP_4)
	v_fmamk_f32 v48, v47, 0x3f575c64, v42
	v_fma_f32 v42, 0x3f575c64, v47, -v42
	v_mul_f32_e32 v19, 0x3f68dda4, v19
	v_fmamk_f32 v43, v47, 0xbf75a155, v46
	s_delay_alu instid0(VALU_DEP_4) | instskip(NEXT) | instid1(VALU_DEP_4)
	v_add_f32_e32 v15, v48, v15
	v_add_f32_e32 v17, v42, v17
	s_delay_alu instid0(VALU_DEP_3) | instskip(SKIP_3) | instid1(VALU_DEP_4)
	v_dual_add_f32 v43, v43, v44 :: v_dual_sub_f32 v42, v21, v25
	v_fma_f32 v44, 0xbf75a155, v47, -v46
	v_add_f32_e32 v46, v20, v24
	v_dual_add_f32 v16, v45, v16 :: v_dual_fmamk_f32 v45, v47, 0x3ed4b147, v19
	v_mul_f32_e32 v48, 0xbe903f40, v42
	v_add_f32_e32 v18, v49, v18
	v_fma_f32 v19, 0x3ed4b147, v47, -v19
	v_add_f32_e32 v44, v44, v14
	v_mul_f32_e32 v14, 0x3f0a6770, v42
	v_fma_f32 v47, 0xbf75a155, v46, -v48
	v_dual_add_f32 v18, v45, v18 :: v_dual_fmamk_f32 v45, v46, 0xbf75a155, v48
	s_delay_alu instid0(VALU_DEP_1) | instskip(SKIP_2) | instid1(VALU_DEP_2)
	v_dual_fmamk_f32 v48, v46, 0x3f575c64, v14 :: v_dual_add_f32 v11, v45, v11
	v_dual_add_f32 v19, v19, v8 :: v_dual_mul_f32 v8, 0xbf4178ce, v42
	v_fma_f32 v45, 0x3f575c64, v46, -v14
	v_dual_add_f32 v14, v47, v13 :: v_dual_fmamk_f32 v49, v46, 0xbf27a4f4, v8
	s_delay_alu instid0(VALU_DEP_4)
	v_add_f32_e32 v13, v48, v22
	v_mul_f32_e32 v22, 0x3f68dda4, v42
	v_mul_f32_e32 v42, 0xbf7d64f0, v42
	v_lshl_add_u32 v48, v12, 2, v4
	v_add_f32_e32 v15, v49, v15
	v_lshl_add_u32 v49, v10, 2, v4
	s_delay_alu instid0(VALU_DEP_4) | instskip(SKIP_2) | instid1(VALU_DEP_2)
	v_fmamk_f32 v47, v46, 0xbe11bafb, v42
	v_fma_f32 v42, 0xbe11bafb, v46, -v42
	v_add_f32_e32 v16, v45, v16
	v_dual_add_f32 v18, v47, v18 :: v_dual_add_f32 v19, v42, v19
	v_fma_f32 v45, 0xbf27a4f4, v46, -v8
	v_fmamk_f32 v8, v46, 0x3ed4b147, v22
	v_fma_f32 v22, 0x3ed4b147, v46, -v22
	v_lshl_add_u32 v47, v9, 2, v4
	s_delay_alu instid0(VALU_DEP_4) | instskip(NEXT) | instid1(VALU_DEP_4)
	v_add_f32_e32 v17, v45, v17
	v_add_f32_e32 v43, v8, v43
	v_mad_u32_u24 v8, v3, 44, v4
	v_add_f32_e32 v22, v22, v44
	ds_store_2addr_b32 v8, v0, v11 offset1:1
	ds_store_2addr_b32 v8, v13, v15 offset0:2 offset1:3
	ds_store_2addr_b32 v8, v43, v18 offset0:4 offset1:5
	ds_store_2addr_b32 v8, v19, v22 offset0:6 offset1:7
	ds_store_2addr_b32 v8, v17, v16 offset0:8 offset1:9
	ds_store_b32 v8, v14 offset:40
	v_mad_i32_i24 v11, 0xffffffd8, v3, v8
	v_lshl_add_u32 v13, v3, 2, v4
	v_lshl_add_u32 v22, v7, 2, v4
	s_waitcnt lgkmcnt(0)
	s_barrier
	buffer_gl0_inv
	ds_load_2addr_b32 v[16:17], v11 offset0:11 offset1:13
	ds_load_2addr_b32 v[18:19], v11 offset0:15 offset1:17
	ds_load_b32 v42, v13
	ds_load_b32 v46, v11 offset:76
	ds_load_b32 v43, v22
	ds_load_b32 v0, v47
	;; [unrolled: 1-line block ×4, first 2 shown]
	s_and_saveexec_b32 s1, s0
	s_cbranch_execz .LBB0_15
; %bb.14:
	ds_load_2addr_b32 v[14:15], v4 offset0:10 offset1:21
.LBB0_15:
	s_or_b32 exec_lo, exec_lo, s1
	v_sub_f32_e32 v36, v36, v38
	v_add_f32_e32 v50, v37, v23
	v_add_f32_e32 v37, v37, v39
	s_waitcnt lgkmcnt(0)
	s_barrier
	v_mul_f32_e32 v51, 0xbf7d64f0, v36
	v_sub_f32_e32 v32, v32, v40
	v_add_f32_e32 v38, v33, v41
	v_dual_add_f32 v33, v33, v50 :: v_dual_mul_f32 v40, 0xbf0a6770, v36
	s_delay_alu instid0(VALU_DEP_4) | instskip(NEXT) | instid1(VALU_DEP_4)
	v_fma_f32 v58, 0xbe11bafb, v37, -v51
	v_mul_f32_e32 v53, 0xbf68dda4, v32
	buffer_gl0_inv
	v_dual_add_f32 v33, v27, v33 :: v_dual_mul_f32 v50, 0xbf68dda4, v36
	v_fma_f32 v56, 0x3f575c64, v37, -v40
	v_dual_mul_f32 v55, 0x3e903f40, v32 :: v_dual_sub_f32 v26, v26, v34
	s_delay_alu instid0(VALU_DEP_3) | instskip(NEXT) | instid1(VALU_DEP_4)
	v_dual_add_f32 v33, v29, v33 :: v_dual_mul_f32 v52, 0xbf4178ce, v36
	v_fma_f32 v57, 0x3ed4b147, v37, -v50
	v_fmac_f32_e32 v40, 0x3f575c64, v37
	v_fmac_f32_e32 v50, 0x3ed4b147, v37
	s_delay_alu instid0(VALU_DEP_4) | instskip(SKIP_3) | instid1(VALU_DEP_4)
	v_dual_add_f32 v33, v21, v33 :: v_dual_mul_f32 v36, 0xbe903f40, v36
	v_fma_f32 v59, 0xbf27a4f4, v37, -v52
	v_add_f32_e32 v57, v57, v23
	v_dual_fmac_f32 v51, 0xbe11bafb, v37 :: v_dual_add_f32 v40, v40, v23
	v_dual_add_f32 v33, v25, v33 :: v_dual_mul_f32 v54, 0xbf4178ce, v32
	s_delay_alu instid0(VALU_DEP_2) | instskip(SKIP_1) | instid1(VALU_DEP_3)
	v_dual_fmac_f32 v52, 0xbf27a4f4, v37 :: v_dual_add_f32 v51, v51, v23
	v_fma_f32 v60, 0xbf75a155, v37, -v36
	v_add_f32_e32 v33, v31, v33
	v_dual_fmac_f32 v36, 0xbf75a155, v37 :: v_dual_add_f32 v59, v59, v23
	v_fma_f32 v37, 0x3ed4b147, v38, -v53
	v_fmac_f32_e32 v53, 0x3ed4b147, v38
	s_delay_alu instid0(VALU_DEP_4) | instskip(SKIP_3) | instid1(VALU_DEP_4)
	v_dual_add_f32 v33, v35, v33 :: v_dual_add_f32 v50, v50, v23
	v_add_f32_e32 v56, v56, v23
	v_add_f32_e32 v58, v58, v23
	v_fma_f32 v61, 0xbf27a4f4, v38, -v54
	v_add_f32_e32 v33, v41, v33
	v_add_f32_e32 v41, v52, v23
	;; [unrolled: 1-line block ×3, first 2 shown]
	v_dual_add_f32 v23, v36, v23 :: v_dual_fmac_f32 v54, 0xbf27a4f4, v38
	s_delay_alu instid0(VALU_DEP_4) | instskip(SKIP_2) | instid1(VALU_DEP_4)
	v_dual_add_f32 v36, v37, v56 :: v_dual_add_f32 v33, v39, v33
	v_add_f32_e32 v37, v53, v40
	v_fma_f32 v39, 0xbf75a155, v38, -v55
	v_dual_add_f32 v50, v54, v50 :: v_dual_mul_f32 v53, 0x3f7d64f0, v32
	v_mul_f32_e32 v32, 0x3f0a6770, v32
	v_dual_add_f32 v40, v61, v57 :: v_dual_fmac_f32 v55, 0xbf75a155, v38
	s_delay_alu instid0(VALU_DEP_4) | instskip(NEXT) | instid1(VALU_DEP_4)
	v_add_f32_e32 v39, v39, v58
	v_fma_f32 v34, 0xbe11bafb, v38, -v53
	v_fmac_f32_e32 v53, 0xbe11bafb, v38
	v_fma_f32 v54, 0x3f575c64, v38, -v32
	v_dual_add_f32 v51, v55, v51 :: v_dual_fmac_f32 v32, 0x3f575c64, v38
	s_delay_alu instid0(VALU_DEP_4) | instskip(NEXT) | instid1(VALU_DEP_4)
	v_add_f32_e32 v34, v34, v59
	v_dual_add_f32 v27, v27, v35 :: v_dual_add_f32 v38, v53, v41
	v_mul_f32_e32 v35, 0xbf7d64f0, v26
	v_add_f32_e32 v41, v54, v52
	v_mul_f32_e32 v53, 0x3e903f40, v26
	v_dual_sub_f32 v28, v28, v30 :: v_dual_add_f32 v29, v29, v31
	s_delay_alu instid0(VALU_DEP_4) | instskip(SKIP_1) | instid1(VALU_DEP_3)
	v_fma_f32 v52, 0xbe11bafb, v27, -v35
	v_dual_sub_f32 v24, v20, v24 :: v_dual_add_f32 v21, v21, v25
	v_mul_f32_e32 v31, 0xbf4178ce, v28
	s_delay_alu instid0(VALU_DEP_3) | instskip(SKIP_1) | instid1(VALU_DEP_1)
	v_add_f32_e32 v36, v52, v36
	v_fma_f32 v52, 0xbf75a155, v27, -v53
	v_dual_fmac_f32 v35, 0xbe11bafb, v27 :: v_dual_add_f32 v40, v52, v40
	v_mul_f32_e32 v52, 0xbf0a6770, v26
	s_delay_alu instid0(VALU_DEP_1) | instskip(NEXT) | instid1(VALU_DEP_1)
	v_fma_f32 v30, 0x3f575c64, v27, -v52
	v_dual_fmac_f32 v53, 0xbf75a155, v27 :: v_dual_add_f32 v30, v30, v34
	s_delay_alu instid0(VALU_DEP_1) | instskip(SKIP_2) | instid1(VALU_DEP_2)
	v_dual_add_f32 v23, v32, v23 :: v_dual_add_f32 v50, v53, v50
	v_dual_mul_f32 v32, 0x3f68dda4, v26 :: v_dual_add_f32 v35, v35, v37
	v_mul_f32_e32 v26, 0xbf4178ce, v26
	v_fma_f32 v37, 0x3ed4b147, v27, -v32
	v_fmac_f32_e32 v32, 0x3ed4b147, v27
	s_delay_alu instid0(VALU_DEP_2) | instskip(NEXT) | instid1(VALU_DEP_2)
	v_add_f32_e32 v37, v37, v39
	v_add_f32_e32 v32, v32, v51
	v_fmac_f32_e32 v52, 0x3f575c64, v27
	v_fma_f32 v39, 0xbf27a4f4, v27, -v26
	v_fmac_f32_e32 v26, 0xbf27a4f4, v27
	v_fma_f32 v27, 0xbf27a4f4, v29, -v31
	s_delay_alu instid0(VALU_DEP_4) | instskip(NEXT) | instid1(VALU_DEP_3)
	v_dual_fmac_f32 v31, 0xbf27a4f4, v29 :: v_dual_add_f32 v34, v52, v38
	v_dual_add_f32 v38, v39, v41 :: v_dual_add_f32 v23, v26, v23
	v_mul_f32_e32 v39, 0x3f7d64f0, v28
	s_delay_alu instid0(VALU_DEP_4) | instskip(NEXT) | instid1(VALU_DEP_2)
	v_add_f32_e32 v26, v27, v36
	v_fma_f32 v36, 0xbe11bafb, v29, -v39
	v_fmac_f32_e32 v39, 0xbe11bafb, v29
	v_add_f32_e32 v31, v31, v35
	v_mul_f32_e32 v35, 0xbe903f40, v28
	s_delay_alu instid0(VALU_DEP_3) | instskip(NEXT) | instid1(VALU_DEP_2)
	v_dual_add_f32 v36, v36, v40 :: v_dual_add_f32 v39, v39, v50
	v_fma_f32 v40, 0xbf75a155, v29, -v35
	v_mul_f32_e32 v27, 0xbf0a6770, v28
	v_mul_f32_e32 v28, 0x3f68dda4, v28
	s_delay_alu instid0(VALU_DEP_3) | instskip(NEXT) | instid1(VALU_DEP_3)
	v_dual_mul_f32 v25, 0xbe903f40, v24 :: v_dual_add_f32 v30, v40, v30
	v_fma_f32 v41, 0x3f575c64, v29, -v27
	v_fmac_f32_e32 v27, 0x3f575c64, v29
	s_delay_alu instid0(VALU_DEP_4) | instskip(SKIP_1) | instid1(VALU_DEP_4)
	v_fma_f32 v20, 0x3ed4b147, v29, -v28
	v_fmac_f32_e32 v28, 0x3ed4b147, v29
	v_add_f32_e32 v37, v41, v37
	s_delay_alu instid0(VALU_DEP_3) | instskip(SKIP_1) | instid1(VALU_DEP_1)
	v_dual_add_f32 v27, v27, v32 :: v_dual_add_f32 v32, v20, v38
	v_fma_f32 v20, 0xbf75a155, v21, -v25
	v_dual_fmac_f32 v35, 0xbf75a155, v29 :: v_dual_add_f32 v26, v20, v26
	s_delay_alu instid0(VALU_DEP_1) | instskip(SKIP_1) | instid1(VALU_DEP_2)
	v_dual_add_f32 v29, v35, v34 :: v_dual_mul_f32 v34, 0x3f0a6770, v24
	v_dual_add_f32 v23, v28, v23 :: v_dual_mul_f32 v28, 0xbf4178ce, v24
	v_fma_f32 v35, 0x3f575c64, v21, -v34
	v_fmac_f32_e32 v34, 0x3f575c64, v21
	s_delay_alu instid0(VALU_DEP_1) | instskip(NEXT) | instid1(VALU_DEP_1)
	v_dual_add_f32 v34, v34, v39 :: v_dual_fmac_f32 v25, 0xbf75a155, v21
	v_dual_add_f32 v20, v25, v31 :: v_dual_add_f32 v31, v35, v36
	v_fma_f32 v25, 0xbf27a4f4, v21, -v28
	v_mul_f32_e32 v35, 0x3f68dda4, v24
	s_delay_alu instid0(VALU_DEP_2) | instskip(NEXT) | instid1(VALU_DEP_2)
	v_dual_mul_f32 v24, 0xbf7d64f0, v24 :: v_dual_add_f32 v25, v25, v37
	v_fma_f32 v36, 0x3ed4b147, v21, -v35
	v_fmac_f32_e32 v28, 0xbf27a4f4, v21
	v_fmac_f32_e32 v35, 0x3ed4b147, v21
	s_delay_alu instid0(VALU_DEP_4) | instskip(NEXT) | instid1(VALU_DEP_3)
	v_fma_f32 v37, 0xbe11bafb, v21, -v24
	v_dual_fmac_f32 v24, 0xbe11bafb, v21 :: v_dual_add_f32 v21, v28, v27
	s_delay_alu instid0(VALU_DEP_3) | instskip(NEXT) | instid1(VALU_DEP_3)
	v_dual_add_f32 v27, v36, v30 :: v_dual_add_f32 v28, v35, v29
	v_add_f32_e32 v29, v37, v32
	s_delay_alu instid0(VALU_DEP_3)
	v_add_f32_e32 v23, v24, v23
	ds_store_2addr_b32 v8, v33, v26 offset1:1
	ds_store_2addr_b32 v8, v31, v25 offset0:2 offset1:3
	ds_store_2addr_b32 v8, v27, v29 offset0:4 offset1:5
	;; [unrolled: 1-line block ×4, first 2 shown]
	ds_store_b32 v8, v20 offset:40
	s_waitcnt lgkmcnt(0)
	s_barrier
	buffer_gl0_inv
	ds_load_2addr_b32 v[24:25], v11 offset0:11 offset1:13
	ds_load_2addr_b32 v[26:27], v11 offset0:15 offset1:17
	ds_load_b32 v29, v13
	ds_load_b32 v33, v11 offset:76
	ds_load_b32 v30, v22
	ds_load_b32 v28, v47
	;; [unrolled: 1-line block ×4, first 2 shown]
	v_mov_b32_e32 v22, 0
	v_mov_b32_e32 v23, 0
	s_and_saveexec_b32 s1, s0
	s_cbranch_execz .LBB0_17
; %bb.16:
	ds_load_2addr_b32 v[20:21], v4 offset0:10 offset1:21
	v_mov_b32_e32 v22, 10
	v_mov_b32_e32 v23, 0
.LBB0_17:
	s_or_b32 exec_lo, exec_lo, s1
	s_and_saveexec_b32 s0, vcc_lo
	s_cbranch_execz .LBB0_20
; %bb.18:
	v_dual_mov_b32 v11, 0 :: v_dual_add_nc_u32 v40, 4, v3
	v_mad_u64_u32 v[38:39], null, s2, v5, 0
	v_mul_lo_u32 v6, s2, v6
	s_delay_alu instid0(VALU_DEP_3) | instskip(SKIP_3) | instid1(VALU_DEP_3)
	v_mov_b32_e32 v13, v11
	v_dual_mov_b32 v4, v11 :: v_dual_add_nc_u32 v47, 8, v3
	v_lshlrev_b64 v[34:35], 3, v[10:11]
	v_dual_mov_b32 v10, v11 :: v_dual_add_nc_u32 v23, 2, v3
	v_lshlrev_b64 v[36:37], 3, v[3:4]
	v_add_nc_u32_e32 v4, 10, v3
	v_lshlrev_b64 v[12:13], 3, v[12:13]
	v_dual_mov_b32 v8, v11 :: v_dual_add_nc_u32 v41, 6, v3
	v_add_co_u32 v34, vcc_lo, s4, v34
	v_lshlrev_b64 v[9:10], 3, v[9:10]
	v_add_co_ci_u32_e32 v35, vcc_lo, s5, v35, vcc_lo
	v_add_co_u32 v12, vcc_lo, s4, v12
	v_lshlrev_b64 v[7:8], 3, v[7:8]
	v_add_co_ci_u32_e32 v13, vcc_lo, s5, v13, vcc_lo
	v_add_co_u32 v9, vcc_lo, s4, v9
	v_add_co_ci_u32_e32 v10, vcc_lo, s5, v10, vcc_lo
	s_delay_alu instid0(VALU_DEP_4)
	v_add_co_u32 v7, vcc_lo, s4, v7
	v_add_co_ci_u32_e32 v8, vcc_lo, s5, v8, vcc_lo
	v_add_co_u32 v36, vcc_lo, s4, v36
	v_add_co_ci_u32_e32 v37, vcc_lo, s5, v37, vcc_lo
	s_clause 0x4
	global_load_b64 v[34:35], v[34:35], off
	global_load_b64 v[11:12], v[12:13], off
	;; [unrolled: 1-line block ×5, first 2 shown]
	v_mul_lo_u32 v13, s3, v5
	v_mul_hi_u32 v5, 0xba2e8ba3, v3
	v_mul_hi_u32 v48, 0xba2e8ba3, v23
	;; [unrolled: 1-line block ×5, first 2 shown]
	v_lshlrev_b64 v[1:2], 3, v[1:2]
	v_cmp_gt_u32_e32 vcc_lo, 11, v4
	v_add3_u32 v39, v39, v6, v13
	v_lshrrev_b32_e32 v5, 3, v5
	v_lshrrev_b32_e32 v52, 3, v48
	;; [unrolled: 1-line block ×5, first 2 shown]
	v_mul_lo_u32 v13, v5, 11
	v_lshlrev_b64 v[5:6], 3, v[38:39]
	v_mul_lo_u32 v38, v52, 11
	v_mul_lo_u32 v39, v53, 11
	;; [unrolled: 1-line block ×4, first 2 shown]
	v_add_co_u32 v5, s0, s10, v5
	v_sub_nc_u32_e32 v56, v3, v13
	v_sub_nc_u32_e32 v13, v23, v38
	;; [unrolled: 1-line block ×5, first 2 shown]
	v_add_nc_u32_e32 v61, 11, v56
	v_add_co_ci_u32_e64 v6, s0, s11, v6, s0
	v_mad_u64_u32 v[47:48], null, v52, 22, v[13:14]
	s_delay_alu instid0(VALU_DEP_3)
	v_mad_u64_u32 v[40:41], null, s12, v61, 0
	v_add_co_u32 v1, s0, v5, v1
	s_waitcnt lgkmcnt(7)
	v_mad_u64_u32 v[48:49], null, v53, 22, v[23:24]
	v_mad_u64_u32 v[49:50], null, v54, 22, v[38:39]
	v_add_co_ci_u32_e64 v2, s0, v6, v2, s0
	v_mad_u64_u32 v[5:6], null, s12, v56, 0
	v_mad_u64_u32 v[50:51], null, v55, 22, v[39:40]
	;; [unrolled: 1-line block ×4, first 2 shown]
	v_add_nc_u32_e32 v72, 11, v49
	v_add_nc_u32_e32 v70, 11, v47
	v_mad_u64_u32 v[57:58], null, s12, v50, 0
	v_mov_b32_e32 v23, v54
	s_delay_alu instid0(VALU_DEP_4) | instskip(SKIP_1) | instid1(VALU_DEP_3)
	v_mad_u64_u32 v[64:65], null, s12, v72, 0
	v_mov_b32_e32 v13, v52
	v_mad_u64_u32 v[68:69], null, s13, v48, v[23:24]
	s_delay_alu instid0(VALU_DEP_1)
	v_mov_b32_e32 v54, v68
	s_waitcnt vmcnt(1)
	v_mad_u64_u32 v[38:39], null, s13, v56, v[6:7]
	v_mov_b32_e32 v6, v41
	v_mad_u64_u32 v[55:56], null, s12, v49, 0
	v_add_nc_u32_e32 v71, 11, v48
	v_add_nc_u32_e32 v73, 11, v50
	s_delay_alu instid0(VALU_DEP_4)
	v_mad_u64_u32 v[59:60], null, s13, v61, v[6:7]
	v_mov_b32_e32 v6, v38
	v_dual_mov_b32 v39, v58 :: v_dual_mov_b32 v38, v56
	v_mad_u64_u32 v[60:61], null, s12, v70, 0
	v_mad_u64_u32 v[62:63], null, s12, v71, 0
	v_mov_b32_e32 v41, v59
	v_mad_u64_u32 v[58:59], null, s13, v47, v[13:14]
	v_mad_u64_u32 v[47:48], null, s13, v49, v[38:39]
	;; [unrolled: 1-line block ×3, first 2 shown]
	v_mov_b32_e32 v38, v65
	v_mad_u64_u32 v[48:49], null, s13, v50, v[39:40]
	v_dual_mov_b32 v52, v58 :: v_dual_mov_b32 v13, v61
	v_mov_b32_e32 v23, v63
	v_mov_b32_e32 v39, v67
	v_lshlrev_b64 v[40:41], 3, v[40:41]
	v_lshlrev_b64 v[5:6], 3, v[5:6]
	v_mad_u64_u32 v[49:50], null, s13, v70, v[13:14]
	v_mov_b32_e32 v58, v48
	v_mad_u64_u32 v[69:70], null, s13, v71, v[23:24]
	s_waitcnt lgkmcnt(4)
	v_mul_f32_e32 v23, v33, v35
	v_dual_mul_f32 v13, v46, v35 :: v_dual_mov_b32 v56, v47
	v_mov_b32_e32 v61, v49
	v_lshlrev_b64 v[47:48], 3, v[53:54]
	s_delay_alu instid0(VALU_DEP_4)
	v_fmac_f32_e32 v23, v46, v34
	v_mul_f32_e32 v46, v26, v10
	v_mad_u64_u32 v[70:71], null, s13, v72, v[38:39]
	v_mad_u64_u32 v[71:72], null, s13, v73, v[39:40]
	v_lshlrev_b64 v[53:54], 3, v[60:61]
	v_dual_mul_f32 v35, v18, v10 :: v_dual_mul_f32 v10, v17, v8
	v_mul_f32_e32 v61, v25, v8
	s_waitcnt vmcnt(0)
	v_dual_mov_b32 v65, v70 :: v_dual_mul_f32 v8, v16, v37
	v_mov_b32_e32 v67, v71
	v_add_co_u32 v5, s0, v1, v5
	s_delay_alu instid0(VALU_DEP_1)
	v_add_co_ci_u32_e64 v6, s0, v2, v6, s0
	v_add_co_u32 v38, s0, v1, v40
	v_mul_f32_e32 v37, v24, v37
	v_fmac_f32_e32 v46, v18, v9
	v_fma_f32 v24, v24, v36, -v8
	v_add_co_ci_u32_e64 v39, s0, v2, v41, s0
	v_lshlrev_b64 v[40:41], 3, v[51:52]
	v_mov_b32_e32 v63, v69
	v_fmac_f32_e32 v61, v17, v7
	v_sub_f32_e32 v24, v29, v24
	v_fmac_f32_e32 v37, v16, v36
	v_sub_f32_e32 v16, v0, v46
	v_fma_f32 v13, v33, v34, -v13
	v_mul_f32_e32 v34, v27, v12
	v_lshlrev_b64 v[49:50], 3, v[55:56]
	v_add_co_u32 v40, s0, v1, v40
	s_delay_alu instid0(VALU_DEP_1) | instskip(NEXT) | instid1(VALU_DEP_4)
	v_add_co_ci_u32_e64 v41, s0, v2, v41, s0
	v_fmac_f32_e32 v34, v19, v11
	v_dual_mul_f32 v33, v19, v12 :: v_dual_sub_f32 v12, v45, v23
	v_lshlrev_b64 v[51:52], 3, v[57:58]
	v_add_co_u32 v47, s0, v1, v47
	s_delay_alu instid0(VALU_DEP_1)
	v_add_co_ci_u32_e64 v48, s0, v2, v48, s0
	v_add_co_u32 v49, s0, v1, v49
	v_fma_f32 v23, v27, v11, -v33
	v_add_co_ci_u32_e64 v50, s0, v2, v50, s0
	v_fma_f32 v18, v25, v7, -v10
	v_lshlrev_b64 v[55:56], 3, v[62:63]
	v_add_co_u32 v51, s0, v1, v51
	s_delay_alu instid0(VALU_DEP_1)
	v_add_co_ci_u32_e64 v52, s0, v2, v52, s0
	v_lshlrev_b64 v[57:58], 3, v[64:65]
	v_add_co_u32 v53, s0, v1, v53
	s_waitcnt lgkmcnt(1)
	v_sub_f32_e32 v10, v31, v23
	v_fma_f32 v11, v26, v9, -v35
	s_waitcnt lgkmcnt(0)
	v_sub_f32_e32 v13, v32, v13
	v_dual_sub_f32 v19, v30, v18 :: v_dual_sub_f32 v18, v43, v61
	v_sub_f32_e32 v23, v42, v37
	v_add_co_ci_u32_e64 v54, s0, v2, v54, s0
	v_lshlrev_b64 v[59:60], 3, v[66:67]
	v_add_co_u32 v55, s0, v1, v55
	s_delay_alu instid0(VALU_DEP_1)
	v_add_co_ci_u32_e64 v56, s0, v2, v56, s0
	v_sub_f32_e32 v17, v28, v11
	v_add_co_u32 v57, s0, v1, v57
	v_fma_f32 v8, v32, 2.0, -v13
	v_sub_f32_e32 v9, v44, v34
	v_fma_f32 v26, v31, 2.0, -v10
	v_fma_f32 v32, v29, 2.0, -v24
	;; [unrolled: 1-line block ×3, first 2 shown]
	v_add_co_ci_u32_e64 v58, s0, v2, v58, s0
	v_fma_f32 v30, v30, 2.0, -v19
	v_fma_f32 v29, v43, 2.0, -v18
	v_add_co_u32 v59, s0, v1, v59
	v_fma_f32 v28, v28, 2.0, -v17
	v_fma_f32 v27, v0, 2.0, -v16
	v_add_co_ci_u32_e64 v60, s0, v2, v60, s0
	v_fma_f32 v7, v45, 2.0, -v12
	v_fma_f32 v25, v44, 2.0, -v9
	s_clause 0x9
	global_store_b64 v[5:6], v[31:32], off
	global_store_b64 v[38:39], v[23:24], off
	;; [unrolled: 1-line block ×10, first 2 shown]
	s_and_b32 exec_lo, exec_lo, vcc_lo
	s_cbranch_execz .LBB0_20
; %bb.19:
	v_mad_u64_u32 v[7:8], null, s12, v4, 0
	v_add_nc_u32_e32 v13, 21, v3
	s_delay_alu instid0(VALU_DEP_1) | instskip(NEXT) | instid1(VALU_DEP_1)
	v_mad_u64_u32 v[9:10], null, s12, v13, 0
	v_dual_mov_b32 v3, v10 :: v_dual_lshlrev_b32 v0, 3, v22
	global_load_b64 v[5:6], v0, s[4:5]
	v_mov_b32_e32 v0, v8
	s_delay_alu instid0(VALU_DEP_1) | instskip(SKIP_1) | instid1(VALU_DEP_2)
	v_mad_u64_u32 v[10:11], null, s13, v4, v[0:1]
	v_mad_u64_u32 v[11:12], null, s13, v13, v[3:4]
	v_mov_b32_e32 v8, v10
	s_waitcnt vmcnt(0)
	v_mul_f32_e32 v0, v21, v6
	v_mul_f32_e32 v3, v15, v6
	s_delay_alu instid0(VALU_DEP_2) | instskip(SKIP_1) | instid1(VALU_DEP_3)
	v_fmac_f32_e32 v0, v15, v5
	v_mov_b32_e32 v10, v11
	v_fma_f32 v11, v21, v5, -v3
	v_lshlrev_b64 v[3:4], 3, v[7:8]
	s_delay_alu instid0(VALU_DEP_4) | instskip(NEXT) | instid1(VALU_DEP_4)
	v_sub_f32_e32 v7, v14, v0
	v_lshlrev_b64 v[5:6], 3, v[9:10]
	s_delay_alu instid0(VALU_DEP_4) | instskip(NEXT) | instid1(VALU_DEP_4)
	v_sub_f32_e32 v8, v20, v11
	v_add_co_u32 v3, vcc_lo, v1, v3
	v_add_co_ci_u32_e32 v4, vcc_lo, v2, v4, vcc_lo
	s_delay_alu instid0(VALU_DEP_4)
	v_add_co_u32 v0, vcc_lo, v1, v5
	v_fma_f32 v9, v14, 2.0, -v7
	v_fma_f32 v10, v20, 2.0, -v8
	v_add_co_ci_u32_e32 v1, vcc_lo, v2, v6, vcc_lo
	s_clause 0x1
	global_store_b64 v[3:4], v[9:10], off
	global_store_b64 v[0:1], v[7:8], off
.LBB0_20:
	s_nop 0
	s_sendmsg sendmsg(MSG_DEALLOC_VGPRS)
	s_endpgm
	.section	.rodata,"a",@progbits
	.p2align	6, 0x0
	.amdhsa_kernel fft_rtc_back_len22_factors_11_2_wgs_64_tpt_2_halfLds_sp_op_CI_CI_sbrr_dirReg
		.amdhsa_group_segment_fixed_size 0
		.amdhsa_private_segment_fixed_size 0
		.amdhsa_kernarg_size 104
		.amdhsa_user_sgpr_count 15
		.amdhsa_user_sgpr_dispatch_ptr 0
		.amdhsa_user_sgpr_queue_ptr 0
		.amdhsa_user_sgpr_kernarg_segment_ptr 1
		.amdhsa_user_sgpr_dispatch_id 0
		.amdhsa_user_sgpr_private_segment_size 0
		.amdhsa_wavefront_size32 1
		.amdhsa_uses_dynamic_stack 0
		.amdhsa_enable_private_segment 0
		.amdhsa_system_sgpr_workgroup_id_x 1
		.amdhsa_system_sgpr_workgroup_id_y 0
		.amdhsa_system_sgpr_workgroup_id_z 0
		.amdhsa_system_sgpr_workgroup_info 0
		.amdhsa_system_vgpr_workitem_id 0
		.amdhsa_next_free_vgpr 74
		.amdhsa_next_free_sgpr 31
		.amdhsa_reserve_vcc 1
		.amdhsa_float_round_mode_32 0
		.amdhsa_float_round_mode_16_64 0
		.amdhsa_float_denorm_mode_32 3
		.amdhsa_float_denorm_mode_16_64 3
		.amdhsa_dx10_clamp 1
		.amdhsa_ieee_mode 1
		.amdhsa_fp16_overflow 0
		.amdhsa_workgroup_processor_mode 1
		.amdhsa_memory_ordered 1
		.amdhsa_forward_progress 0
		.amdhsa_shared_vgpr_count 0
		.amdhsa_exception_fp_ieee_invalid_op 0
		.amdhsa_exception_fp_denorm_src 0
		.amdhsa_exception_fp_ieee_div_zero 0
		.amdhsa_exception_fp_ieee_overflow 0
		.amdhsa_exception_fp_ieee_underflow 0
		.amdhsa_exception_fp_ieee_inexact 0
		.amdhsa_exception_int_div_zero 0
	.end_amdhsa_kernel
	.text
.Lfunc_end0:
	.size	fft_rtc_back_len22_factors_11_2_wgs_64_tpt_2_halfLds_sp_op_CI_CI_sbrr_dirReg, .Lfunc_end0-fft_rtc_back_len22_factors_11_2_wgs_64_tpt_2_halfLds_sp_op_CI_CI_sbrr_dirReg
                                        ; -- End function
	.section	.AMDGPU.csdata,"",@progbits
; Kernel info:
; codeLenInByte = 6328
; NumSgprs: 33
; NumVgprs: 74
; ScratchSize: 0
; MemoryBound: 0
; FloatMode: 240
; IeeeMode: 1
; LDSByteSize: 0 bytes/workgroup (compile time only)
; SGPRBlocks: 4
; VGPRBlocks: 9
; NumSGPRsForWavesPerEU: 33
; NumVGPRsForWavesPerEU: 74
; Occupancy: 16
; WaveLimiterHint : 1
; COMPUTE_PGM_RSRC2:SCRATCH_EN: 0
; COMPUTE_PGM_RSRC2:USER_SGPR: 15
; COMPUTE_PGM_RSRC2:TRAP_HANDLER: 0
; COMPUTE_PGM_RSRC2:TGID_X_EN: 1
; COMPUTE_PGM_RSRC2:TGID_Y_EN: 0
; COMPUTE_PGM_RSRC2:TGID_Z_EN: 0
; COMPUTE_PGM_RSRC2:TIDIG_COMP_CNT: 0
	.text
	.p2alignl 7, 3214868480
	.fill 96, 4, 3214868480
	.type	__hip_cuid_44d7a27cd5f86df7,@object ; @__hip_cuid_44d7a27cd5f86df7
	.section	.bss,"aw",@nobits
	.globl	__hip_cuid_44d7a27cd5f86df7
__hip_cuid_44d7a27cd5f86df7:
	.byte	0                               ; 0x0
	.size	__hip_cuid_44d7a27cd5f86df7, 1

	.ident	"AMD clang version 19.0.0git (https://github.com/RadeonOpenCompute/llvm-project roc-6.4.0 25133 c7fe45cf4b819c5991fe208aaa96edf142730f1d)"
	.section	".note.GNU-stack","",@progbits
	.addrsig
	.addrsig_sym __hip_cuid_44d7a27cd5f86df7
	.amdgpu_metadata
---
amdhsa.kernels:
  - .args:
      - .actual_access:  read_only
        .address_space:  global
        .offset:         0
        .size:           8
        .value_kind:     global_buffer
      - .offset:         8
        .size:           8
        .value_kind:     by_value
      - .actual_access:  read_only
        .address_space:  global
        .offset:         16
        .size:           8
        .value_kind:     global_buffer
      - .actual_access:  read_only
        .address_space:  global
        .offset:         24
        .size:           8
        .value_kind:     global_buffer
      - .actual_access:  read_only
        .address_space:  global
        .offset:         32
        .size:           8
        .value_kind:     global_buffer
      - .offset:         40
        .size:           8
        .value_kind:     by_value
      - .actual_access:  read_only
        .address_space:  global
        .offset:         48
        .size:           8
        .value_kind:     global_buffer
      - .actual_access:  read_only
        .address_space:  global
        .offset:         56
        .size:           8
        .value_kind:     global_buffer
      - .offset:         64
        .size:           4
        .value_kind:     by_value
      - .actual_access:  read_only
        .address_space:  global
        .offset:         72
        .size:           8
        .value_kind:     global_buffer
      - .actual_access:  read_only
        .address_space:  global
        .offset:         80
        .size:           8
        .value_kind:     global_buffer
      - .actual_access:  read_only
        .address_space:  global
        .offset:         88
        .size:           8
        .value_kind:     global_buffer
      - .actual_access:  write_only
        .address_space:  global
        .offset:         96
        .size:           8
        .value_kind:     global_buffer
    .group_segment_fixed_size: 0
    .kernarg_segment_align: 8
    .kernarg_segment_size: 104
    .language:       OpenCL C
    .language_version:
      - 2
      - 0
    .max_flat_workgroup_size: 64
    .name:           fft_rtc_back_len22_factors_11_2_wgs_64_tpt_2_halfLds_sp_op_CI_CI_sbrr_dirReg
    .private_segment_fixed_size: 0
    .sgpr_count:     33
    .sgpr_spill_count: 0
    .symbol:         fft_rtc_back_len22_factors_11_2_wgs_64_tpt_2_halfLds_sp_op_CI_CI_sbrr_dirReg.kd
    .uniform_work_group_size: 1
    .uses_dynamic_stack: false
    .vgpr_count:     74
    .vgpr_spill_count: 0
    .wavefront_size: 32
    .workgroup_processor_mode: 1
amdhsa.target:   amdgcn-amd-amdhsa--gfx1100
amdhsa.version:
  - 1
  - 2
...

	.end_amdgpu_metadata
